;; amdgpu-corpus repo=ROCm/bitsandbytes kind=harvested arch=n/a opt=n/a
	.text
	.amdgcn_target "amdgcn-amd-amdhsa--gfx90a"
	.amdhsa_code_object_version 6
	.protected	_Z18kQuantizeBlockwiseIfLi256ELi2ELi0ELi2EEvPfPT_S0_PhS0_ii ; -- Begin function _Z18kQuantizeBlockwiseIfLi256ELi2ELi0ELi2EEvPfPT_S0_PhS0_ii
	.globl	_Z18kQuantizeBlockwiseIfLi256ELi2ELi0ELi2EEvPfPT_S0_PhS0_ii
	.p2align	8
	.type	_Z18kQuantizeBlockwiseIfLi256ELi2ELi0ELi2EEvPfPT_S0_PhS0_ii,@function
_Z18kQuantizeBlockwiseIfLi256ELi2ELi0ELi2EEvPfPT_S0_PhS0_ii: ; @_Z18kQuantizeBlockwiseIfLi256ELi2ELi0ELi2EEvPfPT_S0_PhS0_ii
; %bb.0:
	s_load_dword s0, s[4:5], 0x30
	s_lshl_b32 s20, s6, 8
	s_waitcnt lgkmcnt(0)
	s_lshl_b32 s24, s0, 8
	s_cmp_ge_i32 s20, s24
	s_cbranch_scc1 .LBB132_71
; %bb.1:
	s_load_dwordx2 s[0:1], s[4:5], 0x8
	s_load_dwordx4 s[16:19], s[4:5], 0x10
	s_load_dword s6, s[4:5], 0x2c
	v_mbcnt_lo_u32_b32 v1, -1, 0
	v_mbcnt_hi_u32_b32 v1, -1, v1
	v_lshlrev_b32_e32 v2, 1, v0
	v_and_b32_e32 v2, 0x780, v2
	v_lshlrev_b32_e32 v3, 2, v1
	s_waitcnt lgkmcnt(0)
	v_mov_b32_e32 v4, s1
	v_add_co_u32_e32 v5, vcc, s0, v3
	v_or_b32_e32 v8, v1, v2
	v_addc_co_u32_e32 v4, vcc, 0, v4, vcc
	v_lshlrev_b32_e32 v6, 2, v2
	v_add_u32_e32 v9, 64, v8
	v_lshrrev_b32_e32 v2, 5, v8
	v_and_b32_e32 v12, 0x3c0, v0
	v_add_co_u32_e32 v6, vcc, v5, v6
	v_add_lshl_u32 v10, v2, v8, 2
	v_lshrrev_b32_e32 v2, 5, v9
	v_add_u32_e32 v13, v1, v12
	v_addc_co_u32_e32 v7, vcc, 0, v4, vcc
	v_add_lshl_u32 v11, v2, v9, 2
	v_lshlrev_b32_e32 v2, 1, v13
	v_bfe_u32 v4, v13, 4, 27
	v_add_lshl_u32 v14, v4, v2, 2
	v_and_b32_e32 v2, 63, v1
	v_cmp_ne_u32_e32 vcc, 63, v2
	v_addc_co_u32_e32 v4, vcc, 0, v1, vcc
	v_cmp_gt_u32_e32 vcc, 62, v2
	v_lshlrev_b32_e32 v15, 2, v4
	v_cndmask_b32_e64 v4, 0, 1, vcc
	v_lshlrev_b32_e32 v4, 1, v4
	v_cmp_gt_u32_e32 vcc, 60, v2
	v_add_lshl_u32 v17, v4, v1, 2
	v_cndmask_b32_e64 v4, 0, 1, vcc
	v_lshlrev_b32_e32 v4, 2, v4
	v_cmp_gt_u32_e32 vcc, 56, v2
	v_add_lshl_u32 v19, v4, v1, 2
	;; [unrolled: 4-line block ×3, first 2 shown]
	v_cndmask_b32_e64 v4, 0, 1, vcc
	v_cmp_gt_u32_e32 vcc, 32, v2
	v_cndmask_b32_e64 v2, 0, 1, vcc
	v_lshlrev_b32_e32 v2, 5, v2
	v_add_lshl_u32 v25, v2, v1, 2
	v_lshrrev_b32_e32 v2, 4, v0
	v_lshlrev_b32_e32 v4, 4, v4
	v_and_b32_e32 v2, 60, v2
	v_add_u32_e32 v16, 1, v1
	v_add_u32_e32 v18, 2, v1
	;; [unrolled: 1-line block ×4, first 2 shown]
	v_add_lshl_u32 v23, v4, v1, 2
	v_add_u32_e32 v24, 16, v1
	v_add_u32_e32 v26, 32, v1
	v_cmp_eq_u32_e64 s[0:1], 0, v1
	v_add_u32_e32 v27, 0x4a0, v2
	v_cmp_gt_u32_e64 s[2:3], 2, v0
	v_and_b32_e32 v2, 1, v1
	v_cmp_eq_u32_e64 s[4:5], 0, v0
	v_mov_b32_e32 v0, s19
	v_add_co_u32_e32 v1, vcc, s18, v1
	v_add_u32_e32 v29, 1, v2
	v_addc_co_u32_e32 v2, vcc, 0, v0, vcc
	v_add_co_u32_e32 v0, vcc, v1, v12
	s_mov_b32 s22, 0
	v_add_u32_e32 v28, 0x4a0, v3
	v_or_b32_e32 v30, 4, v3
	v_addc_co_u32_e32 v31, vcc, 0, v2, vcc
	s_sub_i32 s18, s6, s20
	v_mov_b32_e32 v1, 0
	s_mov_b32 s19, 0xff7fffff
	s_mov_b32 s25, 0x3d22faff
	;; [unrolled: 1-line block ×16, first 2 shown]
	s_branch .LBB132_3
.LBB132_2:                              ;   in Loop: Header=BB132_3 Depth=1
	s_or_b64 exec, exec, s[6:7]
	s_add_i32 s20, s20, s24
	s_sub_i32 s18, s18, s24
	s_cmp_ge_i32 s20, s24
	s_cbranch_scc1 .LBB132_71
.LBB132_3:                              ; =>This Inner Loop Header: Depth=1
	s_ashr_i32 s21, s20, 31
	s_lshl_b64 s[6:7], s[20:21], 2
	v_mov_b32_e32 v3, s7
	v_add_co_u32_e32 v2, vcc, s6, v6
	s_mov_b32 s23, s22
	s_min_i32 s41, s18, 0x100
	v_addc_co_u32_e32 v3, vcc, v7, v3, vcc
	v_pk_mov_b32 v[4:5], s[22:23], s[22:23] op_sel:[0,1]
	v_cmp_gt_u32_e32 vcc, s41, v8
	v_mov_b32_e32 v4, 0
	s_barrier
	s_and_saveexec_b64 s[6:7], vcc
	s_cbranch_execz .LBB132_5
; %bb.4:                                ;   in Loop: Header=BB132_3 Depth=1
	global_load_dword v4, v[2:3], off
	v_mov_b32_e32 v5, 0
.LBB132_5:                              ;   in Loop: Header=BB132_3 Depth=1
	s_or_b64 exec, exec, s[6:7]
	v_cmp_gt_u32_e32 vcc, s41, v9
	s_and_saveexec_b64 s[6:7], vcc
	s_cbranch_execz .LBB132_7
; %bb.6:                                ;   in Loop: Header=BB132_3 Depth=1
	global_load_dword v5, v[2:3], off offset:256
.LBB132_7:                              ;   in Loop: Header=BB132_3 Depth=1
	s_or_b64 exec, exec, s[6:7]
	s_waitcnt vmcnt(0)
	ds_write_b32 v10, v4
	ds_write_b32 v11, v5
	; wave barrier
	ds_read2_b32 v[2:3], v14 offset1:1
	v_sub_u32_e64 v32, s41, v12 clamp
	v_cmp_lt_u32_e64 s[12:13], v26, v32
	s_waitcnt lgkmcnt(0)
	v_max3_f32 v4, |v2|, s19, |v3|
	ds_bpermute_b32 v5, v15, v4
	s_waitcnt lgkmcnt(0)
	v_cmp_lt_f32_e32 vcc, v4, v5
	v_cndmask_b32_e32 v5, v4, v5, vcc
	v_cmp_lt_u32_e32 vcc, v16, v32
	v_cndmask_b32_e32 v5, v4, v5, vcc
	ds_bpermute_b32 v33, v17, v5
	s_waitcnt lgkmcnt(0)
	v_cmp_lt_f32_e64 s[6:7], v5, v33
	v_cndmask_b32_e64 v33, v5, v33, s[6:7]
	v_cmp_lt_u32_e64 s[6:7], v18, v32
	v_cndmask_b32_e64 v5, v5, v33, s[6:7]
	ds_bpermute_b32 v33, v19, v5
	s_or_b64 s[6:7], vcc, s[6:7]
	s_waitcnt lgkmcnt(0)
	v_cmp_lt_f32_e64 s[8:9], v5, v33
	v_cndmask_b32_e64 v33, v5, v33, s[8:9]
	v_cmp_lt_u32_e64 s[8:9], v20, v32
	v_cndmask_b32_e64 v5, v5, v33, s[8:9]
	ds_bpermute_b32 v33, v21, v5
	s_or_b64 s[6:7], s[8:9], s[6:7]
	s_waitcnt lgkmcnt(0)
	v_cmp_lt_f32_e64 s[10:11], v5, v33
	v_cndmask_b32_e64 v33, v5, v33, s[10:11]
	v_cmp_lt_u32_e64 s[10:11], v22, v32
	v_cndmask_b32_e64 v5, v5, v33, s[10:11]
	ds_bpermute_b32 v33, v23, v5
	s_or_b64 s[6:7], s[10:11], s[6:7]
	;; [unrolled: 7-line block ×3, first 2 shown]
	s_waitcnt lgkmcnt(0)
	v_cmp_lt_f32_e32 vcc, v5, v32
	s_and_b64 vcc, s[12:13], vcc
	v_cndmask_b32_e32 v5, v5, v32, vcc
	s_or_b64 vcc, s[12:13], s[6:7]
	v_cndmask_b32_e32 v4, v4, v5, vcc
	s_and_saveexec_b64 s[6:7], s[0:1]
	s_cbranch_execz .LBB132_9
; %bb.8:                                ;   in Loop: Header=BB132_3 Depth=1
	ds_write_b32 v27, v4
.LBB132_9:                              ;   in Loop: Header=BB132_3 Depth=1
	s_or_b64 exec, exec, s[6:7]
	s_waitcnt lgkmcnt(0)
	s_barrier
	s_and_saveexec_b64 s[8:9], s[2:3]
	s_cbranch_execz .LBB132_11
; %bb.10:                               ;   in Loop: Header=BB132_3 Depth=1
	ds_read_b32 v4, v28
	s_add_i32 s6, s41, 63
	s_lshr_b32 s6, s6, 6
	v_cmp_gt_u32_e32 vcc, s6, v29
	s_waitcnt lgkmcnt(0)
	ds_bpermute_b32 v5, v30, v4
	s_waitcnt lgkmcnt(0)
	v_cmp_lt_f32_e64 s[6:7], v4, v5
	s_and_b64 vcc, vcc, s[6:7]
	v_cndmask_b32_e32 v4, v4, v5, vcc
.LBB132_11:                             ;   in Loop: Header=BB132_3 Depth=1
	s_or_b64 exec, exec, s[8:9]
	s_and_saveexec_b64 s[6:7], s[4:5]
	s_cbranch_execz .LBB132_13
; %bb.12:                               ;   in Loop: Header=BB132_3 Depth=1
	v_div_scale_f32 v5, s[8:9], v4, v4, 1.0
	v_rcp_f32_e32 v32, v5
	v_div_scale_f32 v33, vcc, 1.0, v4, 1.0
	s_ashr_i32 s8, s20, 8
	v_fma_f32 v34, -v5, v32, 1.0
	v_fmac_f32_e32 v32, v34, v32
	v_mul_f32_e32 v34, v33, v32
	v_fma_f32 v35, -v5, v34, v33
	v_fmac_f32_e32 v34, v35, v32
	s_ashr_i32 s9, s8, 31
	v_fma_f32 v5, -v5, v34, v33
	s_lshl_b64 s[8:9], s[8:9], 2
	v_div_fmas_f32 v5, v5, v32, v34
	s_add_u32 s8, s16, s8
	v_div_fixup_f32 v5, v5, v4, 1.0
	s_addc_u32 s9, s17, s9
	ds_write_b32 v1, v5 offset:1192
	global_store_dword v1, v4, s[8:9]
.LBB132_13:                             ;   in Loop: Header=BB132_3 Depth=1
	s_or_b64 exec, exec, s[6:7]
	s_waitcnt lgkmcnt(0)
	s_barrier
	ds_read_b32 v4, v1 offset:1192
	s_waitcnt lgkmcnt(0)
	v_mul_f32_e32 v5, v2, v4
	v_cmp_nlt_f32_e32 vcc, s25, v5
                                        ; implicit-def: $vgpr2
	s_and_saveexec_b64 s[6:7], vcc
	s_xor_b64 s[6:7], exec, s[6:7]
	s_cbranch_execz .LBB132_27
; %bb.14:                               ;   in Loop: Header=BB132_3 Depth=1
	v_cmp_nlt_f32_e32 vcc, s26, v5
                                        ; implicit-def: $vgpr2
	s_and_saveexec_b64 s[8:9], vcc
	s_xor_b64 s[8:9], exec, s[8:9]
	s_cbranch_execz .LBB132_20
; %bb.15:                               ;   in Loop: Header=BB132_3 Depth=1
	v_cmp_nlt_f32_e32 vcc, s27, v5
                                        ; implicit-def: $vgpr2
	s_and_saveexec_b64 s[10:11], vcc
	s_xor_b64 s[10:11], exec, s[10:11]
; %bb.16:                               ;   in Loop: Header=BB132_3 Depth=1
	v_cmp_lt_f32_e32 vcc, s28, v5
	v_cndmask_b32_e64 v2, 0, 1, vcc
                                        ; implicit-def: $vgpr5
; %bb.17:                               ;   in Loop: Header=BB132_3 Depth=1
	s_andn2_saveexec_b64 s[10:11], s[10:11]
; %bb.18:                               ;   in Loop: Header=BB132_3 Depth=1
	v_cmp_lt_f32_e32 vcc, s29, v5
	v_cndmask_b32_e64 v2, 2, 3, vcc
; %bb.19:                               ;   in Loop: Header=BB132_3 Depth=1
	s_or_b64 exec, exec, s[10:11]
                                        ; implicit-def: $vgpr5
.LBB132_20:                             ;   in Loop: Header=BB132_3 Depth=1
	s_andn2_saveexec_b64 s[8:9], s[8:9]
	s_cbranch_execz .LBB132_26
; %bb.21:                               ;   in Loop: Header=BB132_3 Depth=1
	v_cmp_nlt_f32_e32 vcc, s30, v5
                                        ; implicit-def: $vgpr2
	s_and_saveexec_b64 s[10:11], vcc
	s_xor_b64 s[10:11], exec, s[10:11]
; %bb.22:                               ;   in Loop: Header=BB132_3 Depth=1
	v_cmp_lt_f32_e32 vcc, s31, v5
	v_cndmask_b32_e64 v2, 4, 5, vcc
                                        ; implicit-def: $vgpr5
; %bb.23:                               ;   in Loop: Header=BB132_3 Depth=1
	s_andn2_saveexec_b64 s[10:11], s[10:11]
; %bb.24:                               ;   in Loop: Header=BB132_3 Depth=1
	v_cmp_lt_f32_e32 vcc, s33, v5
	v_cndmask_b32_e64 v2, 6, 7, vcc
; %bb.25:                               ;   in Loop: Header=BB132_3 Depth=1
	s_or_b64 exec, exec, s[10:11]
.LBB132_26:                             ;   in Loop: Header=BB132_3 Depth=1
	s_or_b64 exec, exec, s[8:9]
                                        ; implicit-def: $vgpr5
.LBB132_27:                             ;   in Loop: Header=BB132_3 Depth=1
	s_andn2_saveexec_b64 s[6:7], s[6:7]
	s_cbranch_execz .LBB132_41
; %bb.28:                               ;   in Loop: Header=BB132_3 Depth=1
	v_cmp_nlt_f32_e32 vcc, s34, v5
                                        ; implicit-def: $vgpr2
	s_and_saveexec_b64 s[8:9], vcc
	s_xor_b64 s[8:9], exec, s[8:9]
	s_cbranch_execz .LBB132_34
; %bb.29:                               ;   in Loop: Header=BB132_3 Depth=1
	v_cmp_nlt_f32_e32 vcc, s35, v5
                                        ; implicit-def: $vgpr2
	s_and_saveexec_b64 s[10:11], vcc
	s_xor_b64 s[10:11], exec, s[10:11]
; %bb.30:                               ;   in Loop: Header=BB132_3 Depth=1
	v_cmp_lt_f32_e32 vcc, s36, v5
	v_cndmask_b32_e64 v2, 8, 9, vcc
                                        ; implicit-def: $vgpr5
; %bb.31:                               ;   in Loop: Header=BB132_3 Depth=1
	s_andn2_saveexec_b64 s[10:11], s[10:11]
; %bb.32:                               ;   in Loop: Header=BB132_3 Depth=1
	v_cmp_lt_f32_e32 vcc, s37, v5
	v_cndmask_b32_e64 v2, 10, 11, vcc
; %bb.33:                               ;   in Loop: Header=BB132_3 Depth=1
	s_or_b64 exec, exec, s[10:11]
                                        ; implicit-def: $vgpr5
.LBB132_34:                             ;   in Loop: Header=BB132_3 Depth=1
	s_andn2_saveexec_b64 s[8:9], s[8:9]
	s_cbranch_execz .LBB132_40
; %bb.35:                               ;   in Loop: Header=BB132_3 Depth=1
	v_cmp_nlt_f32_e32 vcc, s38, v5
                                        ; implicit-def: $vgpr2
	s_and_saveexec_b64 s[10:11], vcc
	s_xor_b64 s[10:11], exec, s[10:11]
; %bb.36:                               ;   in Loop: Header=BB132_3 Depth=1
	v_cmp_lt_f32_e32 vcc, s39, v5
	v_cndmask_b32_e64 v2, 12, 13, vcc
                                        ; implicit-def: $vgpr5
; %bb.37:                               ;   in Loop: Header=BB132_3 Depth=1
	s_andn2_saveexec_b64 s[10:11], s[10:11]
; %bb.38:                               ;   in Loop: Header=BB132_3 Depth=1
	v_cmp_lt_f32_e32 vcc, s40, v5
	v_cndmask_b32_e64 v2, 14, 15, vcc
; %bb.39:                               ;   in Loop: Header=BB132_3 Depth=1
	s_or_b64 exec, exec, s[10:11]
.LBB132_40:                             ;   in Loop: Header=BB132_3 Depth=1
	s_or_b64 exec, exec, s[8:9]
.LBB132_41:                             ;   in Loop: Header=BB132_3 Depth=1
	s_or_b64 exec, exec, s[6:7]
	v_mul_f32_e32 v4, v3, v4
	v_cmp_nlt_f32_e32 vcc, s25, v4
                                        ; implicit-def: $vgpr3
	s_and_saveexec_b64 s[6:7], vcc
	s_xor_b64 s[6:7], exec, s[6:7]
	s_cbranch_execz .LBB132_55
; %bb.42:                               ;   in Loop: Header=BB132_3 Depth=1
	v_cmp_nlt_f32_e32 vcc, s26, v4
                                        ; implicit-def: $vgpr3
	s_and_saveexec_b64 s[8:9], vcc
	s_xor_b64 s[8:9], exec, s[8:9]
	s_cbranch_execz .LBB132_48
; %bb.43:                               ;   in Loop: Header=BB132_3 Depth=1
	v_cmp_nlt_f32_e32 vcc, s27, v4
                                        ; implicit-def: $vgpr3
	s_and_saveexec_b64 s[10:11], vcc
	s_xor_b64 s[10:11], exec, s[10:11]
; %bb.44:                               ;   in Loop: Header=BB132_3 Depth=1
	v_cmp_lt_f32_e32 vcc, s28, v4
	v_cndmask_b32_e64 v3, 0, 1, vcc
                                        ; implicit-def: $vgpr4
; %bb.45:                               ;   in Loop: Header=BB132_3 Depth=1
	s_andn2_saveexec_b64 s[10:11], s[10:11]
; %bb.46:                               ;   in Loop: Header=BB132_3 Depth=1
	v_cmp_lt_f32_e32 vcc, s29, v4
	v_cndmask_b32_e64 v3, 2, 3, vcc
; %bb.47:                               ;   in Loop: Header=BB132_3 Depth=1
	s_or_b64 exec, exec, s[10:11]
                                        ; implicit-def: $vgpr4
.LBB132_48:                             ;   in Loop: Header=BB132_3 Depth=1
	s_andn2_saveexec_b64 s[8:9], s[8:9]
	s_cbranch_execz .LBB132_54
; %bb.49:                               ;   in Loop: Header=BB132_3 Depth=1
	v_cmp_nlt_f32_e32 vcc, s30, v4
                                        ; implicit-def: $vgpr3
	s_and_saveexec_b64 s[10:11], vcc
	s_xor_b64 s[10:11], exec, s[10:11]
; %bb.50:                               ;   in Loop: Header=BB132_3 Depth=1
	v_cmp_lt_f32_e32 vcc, s31, v4
	v_cndmask_b32_e64 v3, 4, 5, vcc
                                        ; implicit-def: $vgpr4
; %bb.51:                               ;   in Loop: Header=BB132_3 Depth=1
	s_andn2_saveexec_b64 s[10:11], s[10:11]
; %bb.52:                               ;   in Loop: Header=BB132_3 Depth=1
	v_cmp_lt_f32_e32 vcc, s33, v4
	v_cndmask_b32_e64 v3, 6, 7, vcc
; %bb.53:                               ;   in Loop: Header=BB132_3 Depth=1
	s_or_b64 exec, exec, s[10:11]
.LBB132_54:                             ;   in Loop: Header=BB132_3 Depth=1
	s_or_b64 exec, exec, s[8:9]
                                        ; implicit-def: $vgpr4
.LBB132_55:                             ;   in Loop: Header=BB132_3 Depth=1
	s_andn2_saveexec_b64 s[6:7], s[6:7]
	s_cbranch_execz .LBB132_69
; %bb.56:                               ;   in Loop: Header=BB132_3 Depth=1
	v_cmp_nlt_f32_e32 vcc, s34, v4
                                        ; implicit-def: $vgpr3
	s_and_saveexec_b64 s[8:9], vcc
	s_xor_b64 s[8:9], exec, s[8:9]
	s_cbranch_execz .LBB132_62
; %bb.57:                               ;   in Loop: Header=BB132_3 Depth=1
	v_cmp_nlt_f32_e32 vcc, s35, v4
                                        ; implicit-def: $vgpr3
	s_and_saveexec_b64 s[10:11], vcc
	s_xor_b64 s[10:11], exec, s[10:11]
; %bb.58:                               ;   in Loop: Header=BB132_3 Depth=1
	v_cmp_lt_f32_e32 vcc, s36, v4
	v_cndmask_b32_e64 v3, 8, 9, vcc
                                        ; implicit-def: $vgpr4
; %bb.59:                               ;   in Loop: Header=BB132_3 Depth=1
	s_andn2_saveexec_b64 s[10:11], s[10:11]
; %bb.60:                               ;   in Loop: Header=BB132_3 Depth=1
	v_cmp_lt_f32_e32 vcc, s37, v4
	v_cndmask_b32_e64 v3, 10, 11, vcc
; %bb.61:                               ;   in Loop: Header=BB132_3 Depth=1
	s_or_b64 exec, exec, s[10:11]
                                        ; implicit-def: $vgpr4
.LBB132_62:                             ;   in Loop: Header=BB132_3 Depth=1
	s_andn2_saveexec_b64 s[8:9], s[8:9]
	s_cbranch_execz .LBB132_68
; %bb.63:                               ;   in Loop: Header=BB132_3 Depth=1
	v_cmp_nlt_f32_e32 vcc, s38, v4
                                        ; implicit-def: $vgpr3
	s_and_saveexec_b64 s[10:11], vcc
	s_xor_b64 s[10:11], exec, s[10:11]
; %bb.64:                               ;   in Loop: Header=BB132_3 Depth=1
	v_cmp_lt_f32_e32 vcc, s39, v4
	v_cndmask_b32_e64 v3, 12, 13, vcc
                                        ; implicit-def: $vgpr4
; %bb.65:                               ;   in Loop: Header=BB132_3 Depth=1
	s_andn2_saveexec_b64 s[10:11], s[10:11]
; %bb.66:                               ;   in Loop: Header=BB132_3 Depth=1
	v_cmp_lt_f32_e32 vcc, s40, v4
	v_cndmask_b32_e64 v3, 14, 15, vcc
; %bb.67:                               ;   in Loop: Header=BB132_3 Depth=1
	s_or_b64 exec, exec, s[10:11]
.LBB132_68:                             ;   in Loop: Header=BB132_3 Depth=1
	s_or_b64 exec, exec, s[8:9]
.LBB132_69:                             ;   in Loop: Header=BB132_3 Depth=1
	s_or_b64 exec, exec, s[6:7]
	s_add_i32 s6, s41, 1
	s_lshr_b32 s7, s6, 31
	s_add_i32 s6, s6, s7
	v_lshlrev_b16_e32 v2, 4, v2
	s_ashr_i32 s6, s6, 1
	v_or_b32_e32 v2, v3, v2
	v_cmp_gt_u32_e32 vcc, s6, v13
	s_barrier
	ds_write_b8 v13, v2 offset:1056
	; wave barrier
	s_and_saveexec_b64 s[6:7], vcc
	s_cbranch_execz .LBB132_2
; %bb.70:                               ;   in Loop: Header=BB132_3 Depth=1
	ds_read_u8 v4, v13 offset:1056
	s_ashr_i32 s8, s20, 1
	s_ashr_i32 s9, s8, 31
	v_mov_b32_e32 v3, s9
	v_add_co_u32_e32 v2, vcc, s8, v0
	v_addc_co_u32_e32 v3, vcc, v31, v3, vcc
	s_waitcnt lgkmcnt(0)
	global_store_byte v[2:3], v4, off
	s_branch .LBB132_2
.LBB132_71:
	s_endpgm
	.section	.rodata,"a",@progbits
	.p2align	6, 0x0
	.amdhsa_kernel _Z18kQuantizeBlockwiseIfLi256ELi2ELi0ELi2EEvPfPT_S0_PhS0_ii
		.amdhsa_group_segment_fixed_size 1196
		.amdhsa_private_segment_fixed_size 0
		.amdhsa_kernarg_size 304
		.amdhsa_user_sgpr_count 6
		.amdhsa_user_sgpr_private_segment_buffer 1
		.amdhsa_user_sgpr_dispatch_ptr 0
		.amdhsa_user_sgpr_queue_ptr 0
		.amdhsa_user_sgpr_kernarg_segment_ptr 1
		.amdhsa_user_sgpr_dispatch_id 0
		.amdhsa_user_sgpr_flat_scratch_init 0
		.amdhsa_user_sgpr_kernarg_preload_length 0
		.amdhsa_user_sgpr_kernarg_preload_offset 0
		.amdhsa_user_sgpr_private_segment_size 0
		.amdhsa_uses_dynamic_stack 0
		.amdhsa_system_sgpr_private_segment_wavefront_offset 0
		.amdhsa_system_sgpr_workgroup_id_x 1
		.amdhsa_system_sgpr_workgroup_id_y 0
		.amdhsa_system_sgpr_workgroup_id_z 0
		.amdhsa_system_sgpr_workgroup_info 0
		.amdhsa_system_vgpr_workitem_id 0
		.amdhsa_next_free_vgpr 36
		.amdhsa_next_free_sgpr 42
		.amdhsa_accum_offset 36
		.amdhsa_reserve_vcc 1
		.amdhsa_reserve_flat_scratch 0
		.amdhsa_float_round_mode_32 0
		.amdhsa_float_round_mode_16_64 0
		.amdhsa_float_denorm_mode_32 3
		.amdhsa_float_denorm_mode_16_64 3
		.amdhsa_dx10_clamp 1
		.amdhsa_ieee_mode 1
		.amdhsa_fp16_overflow 0
		.amdhsa_tg_split 0
		.amdhsa_exception_fp_ieee_invalid_op 0
		.amdhsa_exception_fp_denorm_src 0
		.amdhsa_exception_fp_ieee_div_zero 0
		.amdhsa_exception_fp_ieee_overflow 0
		.amdhsa_exception_fp_ieee_underflow 0
		.amdhsa_exception_fp_ieee_inexact 0
		.amdhsa_exception_int_div_zero 0
	.end_amdhsa_kernel
	.section	.text._Z18kQuantizeBlockwiseIfLi256ELi2ELi0ELi2EEvPfPT_S0_PhS0_ii,"axG",@progbits,_Z18kQuantizeBlockwiseIfLi256ELi2ELi0ELi2EEvPfPT_S0_PhS0_ii,comdat
.Lfunc_end132:
	.size	_Z18kQuantizeBlockwiseIfLi256ELi2ELi0ELi2EEvPfPT_S0_PhS0_ii, .Lfunc_end132-_Z18kQuantizeBlockwiseIfLi256ELi2ELi0ELi2EEvPfPT_S0_PhS0_ii
                                        ; -- End function
	.section	.AMDGPU.csdata,"",@progbits
; Kernel info:
; codeLenInByte = 1844
; NumSgprs: 46
; NumVgprs: 36
; NumAgprs: 0
; TotalNumVgprs: 36
; ScratchSize: 0
; MemoryBound: 0
; FloatMode: 240
; IeeeMode: 1
; LDSByteSize: 1196 bytes/workgroup (compile time only)
; SGPRBlocks: 5
; VGPRBlocks: 4
; NumSGPRsForWavesPerEU: 46
; NumVGPRsForWavesPerEU: 36
; AccumOffset: 36
; Occupancy: 8
; WaveLimiterHint : 0
; COMPUTE_PGM_RSRC2:SCRATCH_EN: 0
; COMPUTE_PGM_RSRC2:USER_SGPR: 6
; COMPUTE_PGM_RSRC2:TRAP_HANDLER: 0
; COMPUTE_PGM_RSRC2:TGID_X_EN: 1
; COMPUTE_PGM_RSRC2:TGID_Y_EN: 0
; COMPUTE_PGM_RSRC2:TGID_Z_EN: 0
; COMPUTE_PGM_RSRC2:TIDIG_COMP_CNT: 0
; COMPUTE_PGM_RSRC3_GFX90A:ACCUM_OFFSET: 8
; COMPUTE_PGM_RSRC3_GFX90A:TG_SPLIT: 0
	.section	.text._Z18kQuantizeBlockwiseIfLi128ELi2ELi0ELi2EEvPfPT_S0_PhS0_ii,"axG",@progbits,_Z18kQuantizeBlockwiseIfLi128ELi2ELi0ELi2EEvPfPT_S0_PhS0_ii,comdat
